;; amdgpu-corpus repo=ROCm/rocFFT kind=compiled arch=gfx906 opt=O3
	.text
	.amdgcn_target "amdgcn-amd-amdhsa--gfx906"
	.amdhsa_code_object_version 6
	.protected	fft_rtc_back_len240_factors_4_4_3_5_wgs_240_tpt_20_dim3_sp_ip_CI_sbcc_twdbase8_3step_dirReg_intrinsicReadWrite ; -- Begin function fft_rtc_back_len240_factors_4_4_3_5_wgs_240_tpt_20_dim3_sp_ip_CI_sbcc_twdbase8_3step_dirReg_intrinsicReadWrite
	.globl	fft_rtc_back_len240_factors_4_4_3_5_wgs_240_tpt_20_dim3_sp_ip_CI_sbcc_twdbase8_3step_dirReg_intrinsicReadWrite
	.p2align	8
	.type	fft_rtc_back_len240_factors_4_4_3_5_wgs_240_tpt_20_dim3_sp_ip_CI_sbcc_twdbase8_3step_dirReg_intrinsicReadWrite,@function
fft_rtc_back_len240_factors_4_4_3_5_wgs_240_tpt_20_dim3_sp_ip_CI_sbcc_twdbase8_3step_dirReg_intrinsicReadWrite: ; @fft_rtc_back_len240_factors_4_4_3_5_wgs_240_tpt_20_dim3_sp_ip_CI_sbcc_twdbase8_3step_dirReg_intrinsicReadWrite
; %bb.0:
	s_load_dwordx4 s[0:3], s[4:5], 0x10
	s_mov_b32 s7, 0
	s_mov_b64 s[20:21], 0
	s_waitcnt lgkmcnt(0)
	s_load_dwordx2 s[10:11], s[0:1], 0x8
	s_waitcnt lgkmcnt(0)
	s_add_u32 s8, s10, -1
	s_addc_u32 s9, s11, -1
	s_add_u32 s12, 0, 0x55540000
	s_addc_u32 s13, 0, 0x55
	s_mul_hi_u32 s15, s12, -12
	s_add_i32 s13, s13, 0x15555500
	s_sub_i32 s15, s15, s12
	s_mul_i32 s18, s13, -12
	s_mul_i32 s14, s12, -12
	s_add_i32 s15, s15, s18
	s_mul_hi_u32 s16, s13, s14
	s_mul_i32 s17, s13, s14
	s_mul_i32 s19, s12, s15
	s_mul_hi_u32 s14, s12, s14
	s_mul_hi_u32 s18, s12, s15
	s_add_u32 s14, s14, s19
	s_addc_u32 s18, 0, s18
	s_add_u32 s14, s14, s17
	s_mul_hi_u32 s19, s13, s15
	s_addc_u32 s14, s18, s16
	s_addc_u32 s16, s19, 0
	s_mul_i32 s15, s13, s15
	s_add_u32 s14, s14, s15
	v_mov_b32_e32 v1, s14
	s_addc_u32 s15, 0, s16
	v_add_co_u32_e32 v1, vcc, s12, v1
	s_cmp_lg_u64 vcc, 0
	s_addc_u32 s12, s13, s15
	v_readfirstlane_b32 s15, v1
	s_mul_i32 s14, s8, s12
	s_mul_hi_u32 s16, s8, s15
	s_mul_hi_u32 s13, s8, s12
	s_add_u32 s14, s16, s14
	s_addc_u32 s13, 0, s13
	s_mul_hi_u32 s17, s9, s15
	s_mul_i32 s15, s9, s15
	s_add_u32 s14, s14, s15
	s_mul_hi_u32 s16, s9, s12
	s_addc_u32 s13, s13, s17
	s_addc_u32 s14, s16, 0
	s_mul_i32 s12, s9, s12
	s_add_u32 s12, s13, s12
	s_addc_u32 s13, 0, s14
	s_add_u32 s14, s12, 1
	s_addc_u32 s15, s13, 0
	s_add_u32 s16, s12, 2
	s_mul_i32 s18, s13, 12
	s_mul_hi_u32 s19, s12, 12
	s_addc_u32 s17, s13, 0
	s_add_i32 s19, s19, s18
	s_mul_i32 s18, s12, 12
	v_mov_b32_e32 v1, s18
	v_sub_co_u32_e32 v1, vcc, s8, v1
	s_cmp_lg_u64 vcc, 0
	s_subb_u32 s8, s9, s19
	v_subrev_co_u32_e32 v2, vcc, 12, v1
	s_cmp_lg_u64 vcc, 0
	s_subb_u32 s9, s8, 0
	v_readfirstlane_b32 s18, v2
	s_cmp_gt_u32 s18, 11
	s_cselect_b32 s18, -1, 0
	s_cmp_eq_u32 s9, 0
	s_cselect_b32 s9, s18, -1
	s_cmp_lg_u32 s9, 0
	s_cselect_b32 s9, s16, s14
	s_cselect_b32 s14, s17, s15
	v_readfirstlane_b32 s15, v1
	s_cmp_gt_u32 s15, 11
	s_cselect_b32 s15, -1, 0
	s_cmp_eq_u32 s8, 0
	s_cselect_b32 s8, s15, -1
	s_cmp_lg_u32 s8, 0
	s_cselect_b32 s9, s9, s12
	s_cselect_b32 s8, s14, s13
	s_add_u32 s18, s9, 1
	s_addc_u32 s19, s8, 0
	v_mov_b32_e32 v1, s18
	v_mov_b32_e32 v2, s19
	v_cmp_lt_u64_e32 vcc, s[6:7], v[1:2]
	s_cbranch_vccnz .LBB0_2
; %bb.1:
	v_cvt_f32_u32_e32 v1, s18
	s_sub_i32 s8, 0, s18
	s_mov_b32 s21, s7
	v_rcp_iflag_f32_e32 v1, v1
	v_mul_f32_e32 v1, 0x4f7ffffe, v1
	v_cvt_u32_f32_e32 v1, v1
	v_readfirstlane_b32 s9, v1
	s_mul_i32 s8, s8, s9
	s_mul_hi_u32 s8, s9, s8
	s_add_i32 s9, s9, s8
	s_mul_hi_u32 s8, s6, s9
	s_mul_i32 s12, s8, s18
	s_sub_i32 s12, s6, s12
	s_add_i32 s9, s8, 1
	s_sub_i32 s13, s12, s18
	s_cmp_ge_u32 s12, s18
	s_cselect_b32 s8, s9, s8
	s_cselect_b32 s12, s13, s12
	s_add_i32 s9, s8, 1
	s_cmp_ge_u32 s12, s18
	s_cselect_b32 s20, s9, s8
.LBB0_2:
	s_load_dwordx2 s[22:23], s[0:1], 0x10
	s_load_dwordx2 s[8:9], s[4:5], 0x50
	;; [unrolled: 1-line block ×3, first 2 shown]
	s_load_dwordx4 s[12:15], s[2:3], 0x0
	s_mov_b64 s[0:1], s[20:21]
	s_waitcnt lgkmcnt(0)
	v_mov_b32_e32 v1, s22
	v_mov_b32_e32 v2, s23
	v_cmp_lt_u64_e32 vcc, s[20:21], v[1:2]
	s_cbranch_vccnz .LBB0_4
; %bb.3:
	v_cvt_f32_u32_e32 v1, s22
	s_sub_i32 s0, 0, s22
	v_rcp_iflag_f32_e32 v1, v1
	v_mul_f32_e32 v1, 0x4f7ffffe, v1
	v_cvt_u32_f32_e32 v1, v1
	v_readfirstlane_b32 s1, v1
	s_mul_i32 s0, s0, s1
	s_mul_hi_u32 s0, s1, s0
	s_add_i32 s1, s1, s0
	s_mul_hi_u32 s0, s20, s1
	s_mul_i32 s0, s0, s22
	s_sub_i32 s0, s20, s0
	s_sub_i32 s1, s0, s22
	s_cmp_ge_u32 s0, s22
	s_cselect_b32 s0, s1, s0
	s_sub_i32 s1, s0, s22
	s_cmp_ge_u32 s0, s22
	s_cselect_b32 s0, s1, s0
.LBB0_4:
	s_mul_i32 s1, s22, s19
	s_mul_hi_u32 s13, s22, s18
	s_add_i32 s1, s13, s1
	s_mul_i32 s13, s23, s18
	s_mul_i32 s24, s22, s18
	s_add_i32 s25, s1, s13
	s_load_dwordx2 s[22:23], s[2:3], 0x10
	v_mov_b32_e32 v1, s24
	v_mov_b32_e32 v2, s25
	v_cmp_lt_u64_e32 vcc, s[6:7], v[1:2]
	s_mov_b64 s[26:27], 0
	s_cbranch_vccnz .LBB0_6
; %bb.5:
	v_cvt_f32_u32_e32 v1, s24
	s_sub_i32 s1, 0, s24
	v_rcp_iflag_f32_e32 v1, v1
	v_mul_f32_e32 v1, 0x4f7ffffe, v1
	v_cvt_u32_f32_e32 v1, v1
	v_readfirstlane_b32 s7, v1
	s_mul_i32 s1, s1, s7
	s_mul_hi_u32 s1, s7, s1
	s_add_i32 s7, s7, s1
	s_mul_hi_u32 s1, s6, s7
	s_mul_i32 s13, s1, s24
	s_sub_i32 s13, s6, s13
	s_add_i32 s7, s1, 1
	s_sub_i32 s15, s13, s24
	s_cmp_ge_u32 s13, s24
	s_cselect_b32 s1, s7, s1
	s_cselect_b32 s13, s15, s13
	s_add_i32 s7, s1, 1
	s_cmp_ge_u32 s13, s24
	s_cselect_b32 s26, s7, s1
.LBB0_6:
	s_mul_i32 s1, s20, s19
	s_mul_hi_u32 s7, s20, s18
	s_load_dword s2, s[2:3], 0x18
	s_add_i32 s7, s7, s1
	s_mul_i32 s1, s20, s18
	s_sub_u32 s1, s6, s1
	v_mul_u32_u24_e32 v5, 0x1556, v0
	s_subb_u32 s6, 0, s7
	s_mul_hi_u32 s7, s1, 12
	s_mul_i32 s1, s1, 12
	v_lshrrev_b32_e32 v34, 16, v5
	s_mul_i32 s6, s6, 12
	s_mul_i32 s3, s14, s1
	s_waitcnt lgkmcnt(0)
	s_mul_i32 s0, s22, s0
	v_mul_lo_u16_e32 v1, 12, v34
	s_add_i32 s6, s7, s6
	s_add_i32 s0, s0, s3
	s_mul_i32 s2, s2, s26
	v_sub_u16_e32 v7, v0, v1
	s_add_i32 s7, s2, s0
	v_mov_b32_e32 v1, s6
	v_add_co_u32_e32 v27, vcc, s1, v7
	v_addc_co_u32_e32 v28, vcc, 0, v1, vcc
	s_add_u32 s0, s1, 12
	v_mad_u64_u32 v[25:26], s[2:3], s14, v7, 0
	v_mul_lo_u32 v3, s12, v34
	v_mov_b32_e32 v1, s10
	s_addc_u32 s1, s6, 0
	v_mov_b32_e32 v2, s11
	v_cmp_le_u64_e64 s[0:1], s[0:1], v[1:2]
	v_cmp_gt_u64_e32 vcc, s[10:11], v[27:28]
	v_add_lshl_u32 v1, v25, v3, 3
	s_or_b64 s[2:3], s[0:1], vcc
	v_add_u32_e32 v26, 20, v34
	v_cndmask_b32_e64 v12, -1, v1, s[2:3]
	v_mul_lo_u32 v1, s12, v26
	v_add_u32_e32 v2, 0x50, v34
	v_mul_lo_u32 v2, s12, v2
	v_add_u32_e32 v3, 0xc8, v34
	v_add_lshl_u32 v1, v25, v1, 3
	v_cndmask_b32_e64 v6, -1, v1, s[2:3]
	v_add_lshl_u32 v1, v25, v2, 3
	v_add_u32_e32 v2, 0x8c, v34
	v_mul_lo_u32 v2, s12, v2
	v_mul_lo_u32 v3, s12, v3
	s_lshl_b32 s13, s7, 3
	s_mov_b32 s11, 0x20000
	s_mov_b32 s10, -2
	v_cndmask_b32_e64 v10, -1, v1, s[2:3]
	v_add_lshl_u32 v1, v25, v2, 3
	v_add_lshl_u32 v13, v25, v3, 3
	v_cndmask_b32_e64 v11, -1, v1, s[2:3]
	buffer_load_dwordx2 v[1:2], v6, s[8:11], s13 offen
	buffer_load_dwordx2 v[3:4], v10, s[8:11], s13 offen
	;; [unrolled: 1-line block ×3, first 2 shown]
	v_cndmask_b32_e64 v6, -1, v13, s[2:3]
	buffer_load_dwordx2 v[10:11], v6, s[8:11], s13 offen
	v_add_u32_e32 v6, 60, v34
	v_add_u32_e32 v13, 0x78, v34
	v_add_u32_e32 v15, 0xb4, v34
	v_mul_lo_u32 v14, s12, v6
	v_mul_lo_u32 v13, s12, v13
	v_mul_lo_u32 v15, s12, v15
	v_add_u32_e32 v36, 40, v34
	v_mul_lo_u32 v21, s12, v36
	v_add_lshl_u32 v14, v25, v14, 3
	v_add_lshl_u32 v13, v25, v13, 3
	;; [unrolled: 1-line block ×3, first 2 shown]
	v_cndmask_b32_e64 v20, -1, v14, s[2:3]
	v_cndmask_b32_e64 v14, -1, v13, s[2:3]
	;; [unrolled: 1-line block ×3, first 2 shown]
	buffer_load_dwordx2 v[12:13], v12, s[8:11], s13 offen
	v_lshlrev_b32_e32 v7, 3, v7
	buffer_load_dwordx2 v[14:15], v14, s[8:11], s13 offen
	s_nop 0
	buffer_load_dwordx2 v[16:17], v22, s[8:11], s13 offen
	buffer_load_dwordx2 v[18:19], v20, s[8:11], s13 offen
	v_add_lshl_u32 v20, v25, v21, 3
	v_add_u32_e32 v21, 0x64, v34
	v_mul_lo_u32 v21, s12, v21
	v_or_b32_e32 v22, 0xa0, v34
	v_mul_lo_u32 v22, s12, v22
	v_cndmask_b32_e64 v24, -1, v20, s[2:3]
	v_add_lshl_u32 v20, v25, v21, 3
	v_add_u32_e32 v21, 0xdc, v34
	v_mul_lo_u32 v28, s12, v21
	v_cndmask_b32_e64 v32, -1, v20, s[2:3]
	v_add_lshl_u32 v20, v25, v22, 3
	v_cndmask_b32_e64 v29, -1, v20, s[2:3]
	buffer_load_dwordx2 v[20:21], v24, s[8:11], s13 offen
	buffer_load_dwordx2 v[22:23], v29, s[8:11], s13 offen
	v_add_lshl_u32 v24, v25, v28, 3
	v_cndmask_b32_e64 v24, -1, v24, s[2:3]
	buffer_load_dwordx2 v[28:29], v24, s[8:11], s13 offen
	buffer_load_dwordx2 v[30:31], v32, s[8:11], s13 offen
	v_mul_u32_u24_e32 v24, 48, v34
	v_lshlrev_b32_e32 v24, 3, v24
	v_add3_u32 v24, 0, v24, v7
	s_movk_i32 s6, 0xfee0
	v_bfe_u32 v44, v5, 16, 4
	s_movk_i32 s18, 0x60
	s_waitcnt vmcnt(9)
	v_sub_f32_e32 v8, v1, v8
	v_sub_f32_e32 v9, v2, v9
	s_waitcnt vmcnt(8)
	v_sub_f32_e32 v10, v3, v10
	v_sub_f32_e32 v11, v4, v11
	v_fma_f32 v32, v1, 2.0, -v8
	v_fma_f32 v33, v2, 2.0, -v9
	;; [unrolled: 1-line block ×4, first 2 shown]
	v_add_f32_e32 v1, v8, v11
	v_sub_f32_e32 v2, v9, v10
	v_sub_f32_e32 v3, v32, v3
	;; [unrolled: 1-line block ×3, first 2 shown]
	v_add_u32_e32 v10, 0x1800, v24
	v_fma_f32 v8, v8, 2.0, -v1
	v_fma_f32 v9, v9, 2.0, -v2
	ds_write2_b64 v10, v[3:4], v[1:2] offset0:216 offset1:228
	v_fma_f32 v1, v32, 2.0, -v3
	v_fma_f32 v2, v33, 2.0, -v4
	ds_write2_b64 v10, v[1:2], v[8:9] offset0:192 offset1:204
	s_waitcnt vmcnt(6)
	v_sub_f32_e32 v10, v12, v14
	v_sub_f32_e32 v11, v13, v15
	s_waitcnt vmcnt(4)
	v_sub_f32_e32 v9, v18, v16
	v_sub_f32_e32 v8, v19, v17
	v_fma_f32 v3, v12, 2.0, -v10
	v_fma_f32 v4, v13, 2.0, -v11
	v_fma_f32 v1, v18, 2.0, -v9
	v_fma_f32 v2, v19, 2.0, -v8
	v_sub_f32_e32 v1, v3, v1
	v_sub_f32_e32 v2, v4, v2
	v_add_f32_e32 v8, v10, v8
	v_sub_f32_e32 v9, v11, v9
	v_fma_f32 v3, v3, 2.0, -v1
	v_fma_f32 v4, v4, 2.0, -v2
	;; [unrolled: 1-line block ×4, first 2 shown]
	ds_write2_b64 v24, v[3:4], v[10:11] offset1:12
	ds_write2_b64 v24, v[1:2], v[8:9] offset0:24 offset1:36
	s_waitcnt vmcnt(2)
	v_sub_f32_e32 v10, v20, v22
	v_sub_f32_e32 v11, v21, v23
	s_waitcnt vmcnt(0)
	v_sub_f32_e32 v9, v30, v28
	v_sub_f32_e32 v8, v31, v29
	v_fma_f32 v3, v20, 2.0, -v10
	v_fma_f32 v4, v21, 2.0, -v11
	;; [unrolled: 1-line block ×4, first 2 shown]
	v_sub_f32_e32 v1, v3, v1
	v_sub_f32_e32 v2, v4, v2
	v_add_f32_e32 v8, v10, v8
	v_sub_f32_e32 v9, v11, v9
	v_fma_f32 v3, v3, 2.0, -v1
	v_fma_f32 v4, v4, 2.0, -v2
	;; [unrolled: 1-line block ×4, first 2 shown]
	v_add_u32_e32 v12, 0x3800, v24
	v_bfe_u32 v30, v5, 16, 2
	ds_write2_b64 v12, v[3:4], v[10:11] offset0:128 offset1:140
	ds_write2_b64 v12, v[1:2], v[8:9] offset0:152 offset1:164
	v_mul_u32_u24_e32 v1, 3, v30
	v_lshlrev_b32_e32 v8, 3, v1
	s_waitcnt lgkmcnt(0)
	s_barrier
	global_load_dwordx4 v[1:4], v8, s[16:17]
	global_load_dwordx2 v[18:19], v8, s[16:17] offset:16
	v_mad_i32_i24 v9, v34, s6, v24
	v_add_u32_e32 v32, 0x1680, v9
	ds_read2_b64 v[10:13], v32 offset1:240
	v_add_u32_e32 v31, 0x2580, v9
	ds_read2_b64 v[14:17], v31 offset1:240
	v_add_u32_e32 v41, 0x3480, v9
	s_movk_i32 s6, 0x3c00
	v_add_u32_e32 v43, 0x4800, v9
	s_waitcnt vmcnt(1) lgkmcnt(1)
	v_mul_f32_e32 v20, v2, v11
	v_mul_f32_e32 v8, v2, v10
	;; [unrolled: 1-line block ×4, first 2 shown]
	v_fmac_f32_e32 v20, v1, v10
	v_fma_f32 v23, v1, v11, -v8
	v_fmac_f32_e32 v33, v1, v12
	v_fma_f32 v35, v1, v13, -v21
	ds_read2_b64 v[10:13], v41 offset1:240
	s_waitcnt lgkmcnt(1)
	v_mul_f32_e32 v22, v4, v17
	v_mul_f32_e32 v8, v4, v16
	v_fmac_f32_e32 v22, v3, v16
	v_fma_f32 v16, v3, v17, -v8
	v_mul_f32_e32 v17, v15, v2
	v_mul_f32_e32 v2, v14, v2
	v_fmac_f32_e32 v17, v14, v1
	v_fma_f32 v37, v15, v1, -v2
	s_waitcnt lgkmcnt(0)
	v_mul_f32_e32 v1, v4, v10
	v_fma_f32 v39, v3, v11, -v1
	v_mul_f32_e32 v1, v12, v4
	v_fma_f32 v42, v13, v3, -v1
	ds_read_b64 v[1:2], v9 offset:17280
	v_mul_f32_e32 v38, v4, v11
	v_mul_f32_e32 v40, v13, v4
	v_fmac_f32_e32 v38, v3, v10
	v_fmac_f32_e32 v40, v12, v3
	v_mul_i32_i24_e32 v3, 0xfffffee0, v36
	v_add3_u32 v10, v24, s6, v3
	ds_read_b64 v[3:4], v9 offset:21120
	ds_read_b64 v[11:12], v10
	ds_read_b64 v[13:14], v9
	s_waitcnt vmcnt(0) lgkmcnt(3)
	v_mul_f32_e32 v15, v19, v2
	v_fmac_f32_e32 v15, v18, v1
	v_mul_f32_e32 v1, v19, v1
	v_fma_f32 v1, v18, v2, -v1
	s_movk_i32 s6, 0x1e00
	v_mul_i32_i24_e32 v2, 0xfffffee0, v26
	s_waitcnt lgkmcnt(0)
	v_sub_f32_e32 v21, v13, v22
	v_sub_f32_e32 v22, v14, v16
	;; [unrolled: 1-line block ×4, first 2 shown]
	v_add3_u32 v8, v24, s6, v2
	v_fma_f32 v1, v20, 2.0, -v16
	v_fma_f32 v2, v23, 2.0, -v15
	v_add_f32_e32 v15, v21, v15
	v_sub_f32_e32 v16, v22, v16
	v_fma_f32 v13, v13, 2.0, -v21
	v_fma_f32 v14, v14, 2.0, -v22
	;; [unrolled: 1-line block ×4, first 2 shown]
	ds_read_b64 v[22:23], v8
	ds_read2_b32 v[28:29], v43 offset0:192 offset1:193
	s_movk_i32 s6, 0x70
	v_lshrrev_b32_e32 v24, 14, v5
	v_and_or_b32 v24, v24, s6, v30
	v_sub_f32_e32 v1, v13, v1
	v_sub_f32_e32 v2, v14, v2
	v_mul_u32_u24_e32 v24, 0x60, v24
	v_fma_f32 v13, v13, 2.0, -v1
	v_fma_f32 v14, v14, 2.0, -v2
	v_add3_u32 v24, 0, v24, v7
	s_waitcnt lgkmcnt(0)
	s_barrier
	ds_write2_b64 v24, v[13:14], v[20:21] offset1:48
	ds_write2_b64 v24, v[1:2], v[15:16] offset0:96 offset1:144
	v_mul_f32_e32 v1, v29, v19
	v_mul_f32_e32 v2, v19, v28
	v_fmac_f32_e32 v1, v18, v28
	v_fma_f32 v2, v29, v18, -v2
	v_sub_f32_e32 v20, v22, v38
	v_sub_f32_e32 v21, v23, v39
	v_fma_f32 v13, v22, 2.0, -v20
	v_sub_f32_e32 v16, v33, v1
	v_sub_f32_e32 v15, v35, v2
	s_movk_i32 s6, 0xf0
	v_lshlrev_b32_e32 v22, 2, v26
	v_fma_f32 v14, v23, 2.0, -v21
	v_fma_f32 v1, v33, 2.0, -v16
	v_fma_f32 v2, v35, 2.0, -v15
	v_and_or_b32 v22, v22, s6, v30
	v_sub_f32_e32 v1, v13, v1
	v_sub_f32_e32 v2, v14, v2
	v_add_f32_e32 v15, v20, v15
	v_sub_f32_e32 v16, v21, v16
	v_mul_u32_u24_e32 v22, 0x60, v22
	v_fma_f32 v13, v13, 2.0, -v1
	v_fma_f32 v14, v14, 2.0, -v2
	;; [unrolled: 1-line block ×4, first 2 shown]
	v_add3_u32 v22, 0, v22, v7
	ds_write2_b64 v22, v[13:14], v[20:21] offset1:48
	ds_write2_b64 v22, v[1:2], v[15:16] offset0:96 offset1:144
	v_mul_f32_e32 v1, v4, v19
	v_mul_f32_e32 v2, v3, v19
	v_fmac_f32_e32 v1, v3, v18
	v_fma_f32 v2, v4, v18, -v2
	v_sub_f32_e32 v13, v11, v40
	v_sub_f32_e32 v14, v12, v42
	v_fma_f32 v3, v11, 2.0, -v13
	v_fma_f32 v4, v12, 2.0, -v14
	v_sub_f32_e32 v12, v17, v1
	v_sub_f32_e32 v11, v37, v2
	s_movk_i32 s6, 0x1f0
	v_lshlrev_b32_e32 v15, 2, v36
	v_fma_f32 v1, v17, 2.0, -v12
	v_fma_f32 v2, v37, 2.0, -v11
	v_and_or_b32 v15, v15, s6, v30
	v_sub_f32_e32 v1, v3, v1
	v_sub_f32_e32 v2, v4, v2
	v_add_f32_e32 v11, v13, v11
	v_sub_f32_e32 v12, v14, v12
	v_mul_u32_u24_e32 v15, 0x60, v15
	v_fma_f32 v3, v3, 2.0, -v1
	v_fma_f32 v4, v4, 2.0, -v2
	;; [unrolled: 1-line block ×4, first 2 shown]
	v_add3_u32 v15, 0, v15, v7
	v_and_b32_e32 v33, 15, v26
	ds_write2_b64 v15, v[3:4], v[13:14] offset1:48
	ds_write2_b64 v15, v[1:2], v[11:12] offset0:96 offset1:144
	v_lshlrev_b32_e32 v1, 4, v33
	s_waitcnt lgkmcnt(0)
	s_barrier
	global_load_dwordx4 v[1:4], v1, s[16:17] offset:96
	v_and_b32_e32 v35, 15, v36
	v_lshlrev_b32_e32 v11, 4, v35
	global_load_dwordx4 v[11:14], v11, s[16:17] offset:96
	v_and_b32_e32 v42, 15, v6
	v_lshlrev_b32_e32 v15, 4, v42
	global_load_dwordx4 v[15:18], v15, s[16:17] offset:96
	v_lshlrev_b32_e32 v19, 4, v44
	global_load_dwordx4 v[19:22], v19, s[16:17] offset:96
	ds_read2_b64 v[28:31], v31 offset1:240
	v_add_u32_e32 v23, 0x4380, v9
	ds_read2_b64 v[37:40], v23 offset1:240
	v_lshrrev_b32_e32 v5, 20, v5
	v_mul_u32_u24_e32 v5, 48, v5
	v_or_b32_e32 v5, v5, v44
	v_mul_u32_u24_e32 v5, 0x60, v5
	v_add3_u32 v5, 0, v5, v7
	v_lshrrev_b32_e32 v6, 4, v6
	v_mul_u32_u24_e32 v6, 48, v6
	v_or_b32_e32 v6, v6, v42
	v_mul_u32_u24_e32 v6, 0x60, v6
	v_add3_u32 v6, 0, v6, v7
	v_cmp_gt_u32_e64 s[6:7], s18, v0
	s_waitcnt vmcnt(3) lgkmcnt(1)
	v_mul_f32_e32 v45, v2, v29
	v_mul_f32_e32 v2, v2, v28
	v_fmac_f32_e32 v45, v1, v28
	v_fma_f32 v46, v1, v29, -v2
	s_waitcnt lgkmcnt(0)
	v_mul_f32_e32 v47, v4, v38
	v_mul_f32_e32 v1, v4, v37
	v_fmac_f32_e32 v47, v3, v37
	v_fma_f32 v37, v3, v38, -v1
	s_waitcnt vmcnt(2)
	v_mul_f32_e32 v1, v12, v30
	v_mul_f32_e32 v38, v12, v31
	v_fma_f32 v48, v11, v31, -v1
	v_mul_f32_e32 v49, v40, v14
	v_mul_f32_e32 v1, v39, v14
	v_fmac_f32_e32 v38, v11, v30
	v_fmac_f32_e32 v49, v39, v13
	v_fma_f32 v39, v40, v13, -v1
	ds_read_b64 v[1:2], v9 offset:21120
	ds_read2_b64 v[11:14], v41 offset1:240
	ds_read_b64 v[23:24], v8
	ds_read_b64 v[28:29], v10
	;; [unrolled: 1-line block ×3, first 2 shown]
	s_waitcnt vmcnt(1) lgkmcnt(4)
	v_mul_f32_e32 v40, v2, v18
	v_fmac_f32_e32 v40, v1, v17
	v_mul_f32_e32 v1, v1, v18
	v_fma_f32 v17, v2, v17, -v1
	s_waitcnt lgkmcnt(3)
	v_mul_f32_e32 v18, v12, v16
	v_mul_f32_e32 v1, v11, v16
	v_fmac_f32_e32 v18, v11, v15
	v_fma_f32 v15, v12, v15, -v1
	ds_read2_b64 v[1:4], v32 offset1:240
	s_waitcnt vmcnt(0)
	v_mul_f32_e32 v11, v22, v14
	v_fmac_f32_e32 v11, v21, v13
	v_mul_f32_e32 v12, v22, v13
	v_fma_f32 v12, v21, v14, -v12
	s_waitcnt lgkmcnt(0)
	v_mul_f32_e32 v13, v20, v4
	v_fmac_f32_e32 v13, v19, v3
	v_mul_f32_e32 v3, v20, v3
	v_fma_f32 v14, v19, v4, -v3
	v_add_f32_e32 v4, v13, v11
	v_add_f32_e32 v3, v30, v13
	v_fma_f32 v30, -0.5, v4, v30
	v_add_f32_e32 v4, v31, v14
	v_add_f32_e32 v4, v4, v12
	v_sub_f32_e32 v16, v14, v12
	v_add_f32_e32 v12, v14, v12
	v_fmac_f32_e32 v31, -0.5, v12
	v_add_f32_e32 v3, v3, v11
	v_sub_f32_e32 v13, v13, v11
	v_mov_b32_e32 v11, v30
	v_mov_b32_e32 v12, v31
	v_fmac_f32_e32 v11, 0xbf5db3d7, v16
	v_fmac_f32_e32 v12, 0x3f5db3d7, v13
	s_barrier
	ds_write2st64_b64 v5, v[3:4], v[11:12] offset1:3
	v_add_f32_e32 v4, v45, v47
	v_add_f32_e32 v11, v46, v37
	;; [unrolled: 1-line block ×3, first 2 shown]
	v_fma_f32 v23, -0.5, v4, v23
	v_add_f32_e32 v4, v24, v46
	v_fmac_f32_e32 v24, -0.5, v11
	v_lshrrev_b32_e32 v11, 4, v26
	v_mul_u32_u24_e32 v11, 48, v11
	v_fmac_f32_e32 v30, 0x3f5db3d7, v16
	v_fmac_f32_e32 v31, 0xbf5db3d7, v13
	v_or_b32_e32 v14, v11, v33
	ds_write_b64 v5, v[30:31] offset:3072
	v_sub_f32_e32 v5, v46, v37
	v_sub_f32_e32 v13, v45, v47
	v_mov_b32_e32 v11, v23
	v_mov_b32_e32 v12, v24
	v_mul_u32_u24_e32 v14, 0x60, v14
	v_add_f32_e32 v3, v3, v47
	v_add_f32_e32 v4, v4, v37
	v_fmac_f32_e32 v11, 0xbf5db3d7, v5
	v_fmac_f32_e32 v12, 0x3f5db3d7, v13
	v_add3_u32 v14, 0, v14, v7
	ds_write2st64_b64 v14, v[3:4], v[11:12] offset1:3
	v_add_f32_e32 v4, v38, v49
	v_add_f32_e32 v11, v48, v39
	;; [unrolled: 1-line block ×3, first 2 shown]
	v_fma_f32 v28, -0.5, v4, v28
	v_add_f32_e32 v4, v29, v48
	v_fmac_f32_e32 v29, -0.5, v11
	v_lshrrev_b32_e32 v11, 4, v36
	v_fmac_f32_e32 v23, 0x3f5db3d7, v5
	v_fmac_f32_e32 v24, 0xbf5db3d7, v13
	v_mul_u32_u24_e32 v11, 48, v11
	ds_write_b64 v14, v[23:24] offset:3072
	v_or_b32_e32 v14, v11, v35
	v_sub_f32_e32 v5, v48, v39
	v_sub_f32_e32 v13, v38, v49
	v_mov_b32_e32 v11, v28
	v_mov_b32_e32 v12, v29
	v_mul_u32_u24_e32 v14, 0x60, v14
	v_add_f32_e32 v3, v3, v49
	v_add_f32_e32 v4, v4, v39
	v_fmac_f32_e32 v11, 0xbf5db3d7, v5
	v_fmac_f32_e32 v12, 0x3f5db3d7, v13
	v_add3_u32 v14, 0, v14, v7
	ds_write2st64_b64 v14, v[3:4], v[11:12] offset1:3
	v_add_f32_e32 v4, v18, v40
	v_add_f32_e32 v11, v15, v17
	v_fmac_f32_e32 v28, 0x3f5db3d7, v5
	v_fmac_f32_e32 v29, 0xbf5db3d7, v13
	v_add_f32_e32 v3, v1, v18
	v_fma_f32 v1, -0.5, v4, v1
	v_add_f32_e32 v4, v2, v15
	v_fmac_f32_e32 v2, -0.5, v11
	ds_write_b64 v14, v[28:29] offset:3072
	v_sub_f32_e32 v5, v15, v17
	v_sub_f32_e32 v11, v18, v40
	v_mov_b32_e32 v28, v1
	v_mov_b32_e32 v29, v2
	v_add_f32_e32 v3, v3, v40
	v_add_f32_e32 v4, v4, v17
	v_fmac_f32_e32 v28, 0xbf5db3d7, v5
	v_fmac_f32_e32 v29, 0x3f5db3d7, v11
	;; [unrolled: 1-line block ×4, first 2 shown]
	ds_write2st64_b64 v6, v[3:4], v[28:29] offset1:3
	ds_write_b64 v6, v[1:2] offset:3072
	s_waitcnt lgkmcnt(0)
	s_barrier
	v_add_u32_e32 v3, 0x2400, v9
	v_add_u32_e32 v4, 0x3600, v9
	ds_read_b64 v[30:31], v8
	ds_read_b64 v[32:33], v9 offset:6528
	ds_read2_b64 v[21:24], v3 offset1:240
	ds_read2_b64 v[17:20], v4 offset1:240
	ds_read2_b64 v[13:16], v43 offset1:240
	ds_read2st64_b64 v[5:8], v9 offset1:9
	v_mov_b32_e32 v35, 0
                                        ; implicit-def: $vgpr12
	s_and_saveexec_b64 s[14:15], s[6:7]
	s_cbranch_execz .LBB0_8
; %bb.7:
	v_add_u32_e32 v9, 0x100, v9
	ds_read_b64 v[28:29], v10
	ds_read2st64_b64 v[1:4], v9 offset0:16 offset1:25
	ds_read2st64_b64 v[9:12], v9 offset0:34 offset1:43
.LBB0_8:
	s_or_b64 exec, exec, s[14:15]
	s_load_dwordx2 s[6:7], s[4:5], 0x8
	s_movk_i32 s4, 0x240
	v_subrev_u32_e32 v37, 48, v34
	v_cmp_gt_u32_e64 s[4:5], s4, v0
	v_cndmask_b32_e64 v37, v37, v34, s[4:5]
	v_lshlrev_b32_e32 v34, 2, v37
	v_lshlrev_b64 v[34:35], 3, v[34:35]
	v_mov_b32_e32 v38, s17
	v_add_co_u32_e64 v34, s[4:5], s16, v34
	v_addc_co_u32_e64 v35, s[4:5], v38, v35, s[4:5]
	global_load_dwordx4 v[38:41], v[34:35], off offset:368
	global_load_dwordx4 v[42:45], v[34:35], off offset:352
	s_movk_i32 s4, 0x23f
	v_cmp_lt_u32_e64 s[4:5], s4, v0
	s_movk_i32 s14, 0xc0
	s_waitcnt vmcnt(1) lgkmcnt(0)
	v_mul_f32_e32 v49, v39, v18
	s_waitcnt vmcnt(0)
	v_mul_f32_e32 v46, v43, v8
	v_fmac_f32_e32 v46, v42, v7
	v_mul_f32_e32 v7, v43, v7
	v_fma_f32 v47, v42, v8, -v7
	v_mul_f32_e32 v7, v45, v21
	v_mul_f32_e32 v48, v45, v22
	v_fma_f32 v22, v44, v22, -v7
	v_mul_f32_e32 v7, v39, v17
	v_fma_f32 v50, v38, v18, -v7
	;; [unrolled: 2-line block ×3, first 2 shown]
	v_mul_lo_u16_e32 v7, 43, v26
	v_lshrrev_b16_e32 v34, 11, v7
	v_mul_lo_u16_e32 v7, 48, v34
	v_sub_u16_e32 v7, v26, v7
	v_fmac_f32_e32 v48, v44, v21
	v_and_b32_e32 v21, 0xff, v7
	v_mul_f32_e32 v8, v41, v14
	v_lshlrev_b32_e32 v7, 5, v21
	v_fmac_f32_e32 v49, v38, v17
	v_fmac_f32_e32 v8, v40, v13
	global_load_dwordx4 v[38:41], v7, s[16:17] offset:368
	global_load_dwordx4 v[42:45], v7, s[16:17] offset:352
	s_waitcnt vmcnt(0)
	v_mul_f32_e32 v52, v43, v33
	v_mul_f32_e32 v7, v43, v32
	v_fmac_f32_e32 v52, v42, v32
	v_fma_f32 v32, v42, v33, -v7
	v_mul_f32_e32 v33, v45, v24
	v_mul_f32_e32 v7, v45, v23
	v_fmac_f32_e32 v33, v44, v23
	v_fma_f32 v23, v44, v24, -v7
	;; [unrolled: 4-line block ×3, first 2 shown]
	v_mul_f32_e32 v7, v41, v15
	v_mul_f32_e32 v39, v41, v16
	v_fma_f32 v41, v40, v16, -v7
	v_mul_lo_u16_e32 v7, 43, v36
	v_lshrrev_b16_e32 v35, 11, v7
	v_mul_lo_u16_e32 v7, 48, v35
	v_sub_u16_e32 v7, v36, v7
	v_fmac_f32_e32 v39, v40, v15
	v_and_b32_e32 v40, 0xff, v7
	v_lshlrev_b32_e32 v7, 5, v40
	global_load_dwordx4 v[13:16], v7, s[16:17] offset:368
	global_load_dwordx4 v[17:20], v7, s[16:17] offset:352
	v_sub_f32_e32 v7, v47, v51
	s_waitcnt vmcnt(1)
	v_mul_f32_e32 v45, v10, v14
	s_waitcnt vmcnt(0)
	v_mul_f32_e32 v43, v2, v18
	v_fmac_f32_e32 v43, v1, v17
	v_mul_f32_e32 v1, v1, v18
	v_fma_f32 v1, v2, v17, -v1
	v_mul_f32_e32 v44, v4, v20
	v_mul_f32_e32 v2, v3, v20
	v_fmac_f32_e32 v44, v3, v19
	v_fma_f32 v19, v4, v19, -v2
	v_mul_f32_e32 v2, v9, v14
	v_add_f32_e32 v3, v48, v49
	v_fma_f32 v53, v10, v13, -v2
	v_fma_f32 v10, -0.5, v3, v5
	v_mul_f32_e32 v54, v12, v16
	v_mov_b32_e32 v3, v10
	v_fmac_f32_e32 v45, v9, v13
	v_fmac_f32_e32 v54, v11, v15
	v_mul_f32_e32 v2, v11, v16
	v_fmac_f32_e32 v3, 0xbf737871, v7
	v_sub_f32_e32 v11, v22, v50
	v_sub_f32_e32 v4, v46, v48
	;; [unrolled: 1-line block ×3, first 2 shown]
	v_fmac_f32_e32 v10, 0x3f737871, v7
	v_fmac_f32_e32 v3, 0xbf167918, v11
	v_add_f32_e32 v4, v4, v9
	v_fmac_f32_e32 v10, 0x3f167918, v11
	v_fmac_f32_e32 v3, 0x3e9e377a, v4
	;; [unrolled: 1-line block ×3, first 2 shown]
	v_add_f32_e32 v4, v46, v8
	v_fma_f32 v9, -0.5, v4, v5
	v_mov_b32_e32 v4, v9
	v_fma_f32 v55, v12, v15, -v2
	v_add_f32_e32 v2, v5, v46
	v_fmac_f32_e32 v4, 0x3f737871, v11
	v_sub_f32_e32 v5, v48, v46
	v_sub_f32_e32 v12, v49, v8
	v_fmac_f32_e32 v9, 0xbf737871, v11
	v_fmac_f32_e32 v4, 0xbf167918, v7
	v_add_f32_e32 v5, v5, v12
	v_fmac_f32_e32 v9, 0x3f167918, v7
	v_fmac_f32_e32 v4, 0x3e9e377a, v5
	;; [unrolled: 1-line block ×3, first 2 shown]
	v_add_f32_e32 v5, v6, v47
	v_add_f32_e32 v5, v5, v22
	;; [unrolled: 1-line block ×7, first 2 shown]
	v_fma_f32 v11, -0.5, v5, v6
	v_add_f32_e32 v2, v2, v8
	v_sub_f32_e32 v12, v46, v8
	v_mov_b32_e32 v8, v11
	v_fmac_f32_e32 v8, 0x3f737871, v12
	v_sub_f32_e32 v13, v48, v49
	v_sub_f32_e32 v5, v47, v22
	;; [unrolled: 1-line block ×3, first 2 shown]
	v_fmac_f32_e32 v11, 0xbf737871, v12
	v_fmac_f32_e32 v8, 0x3f167918, v13
	v_add_f32_e32 v5, v5, v14
	v_fmac_f32_e32 v11, 0xbf167918, v13
	v_fmac_f32_e32 v8, 0x3e9e377a, v5
	v_fmac_f32_e32 v11, 0x3e9e377a, v5
	v_add_f32_e32 v5, v47, v51
	v_fma_f32 v6, -0.5, v5, v6
	v_mov_b32_e32 v5, v6
	v_fmac_f32_e32 v5, 0xbf737871, v13
	v_sub_f32_e32 v14, v22, v47
	v_sub_f32_e32 v15, v50, v51
	v_fmac_f32_e32 v6, 0x3f737871, v13
	v_add_f32_e32 v13, v33, v24
	v_fmac_f32_e32 v5, 0x3f167918, v12
	v_add_f32_e32 v14, v14, v15
	v_fmac_f32_e32 v6, 0xbf167918, v12
	v_fma_f32 v20, -0.5, v13, v30
	v_fmac_f32_e32 v5, 0x3e9e377a, v14
	v_fmac_f32_e32 v6, 0x3e9e377a, v14
	v_sub_f32_e32 v13, v32, v41
	v_mov_b32_e32 v14, v20
	v_fmac_f32_e32 v14, 0xbf737871, v13
	v_sub_f32_e32 v15, v23, v38
	v_sub_f32_e32 v16, v52, v33
	;; [unrolled: 1-line block ×3, first 2 shown]
	v_fmac_f32_e32 v20, 0x3f737871, v13
	v_fmac_f32_e32 v14, 0xbf167918, v15
	v_add_f32_e32 v16, v16, v17
	v_fmac_f32_e32 v20, 0x3f167918, v15
	v_fmac_f32_e32 v14, 0x3e9e377a, v16
	;; [unrolled: 1-line block ×3, first 2 shown]
	v_add_f32_e32 v16, v52, v39
	v_fma_f32 v18, -0.5, v16, v30
	v_mov_b32_e32 v16, v18
	v_fmac_f32_e32 v16, 0x3f737871, v15
	v_fmac_f32_e32 v18, 0xbf737871, v15
	v_add_f32_e32 v15, v23, v38
	v_add_f32_e32 v12, v30, v52
	v_sub_f32_e32 v17, v33, v52
	v_sub_f32_e32 v22, v24, v39
	v_fma_f32 v42, -0.5, v15, v31
	v_add_f32_e32 v12, v12, v33
	v_fmac_f32_e32 v16, 0xbf167918, v13
	v_add_f32_e32 v17, v17, v22
	v_fmac_f32_e32 v18, 0x3f167918, v13
	v_sub_f32_e32 v22, v52, v39
	v_mov_b32_e32 v15, v42
	v_add_f32_e32 v12, v12, v24
	v_fmac_f32_e32 v16, 0x3e9e377a, v17
	v_fmac_f32_e32 v18, 0x3e9e377a, v17
	;; [unrolled: 1-line block ×3, first 2 shown]
	v_sub_f32_e32 v24, v33, v24
	v_sub_f32_e32 v17, v32, v23
	;; [unrolled: 1-line block ×3, first 2 shown]
	v_fmac_f32_e32 v42, 0xbf737871, v22
	v_fmac_f32_e32 v15, 0x3f167918, v24
	v_add_f32_e32 v17, v17, v30
	v_fmac_f32_e32 v42, 0xbf167918, v24
	v_fmac_f32_e32 v15, 0x3e9e377a, v17
	;; [unrolled: 1-line block ×3, first 2 shown]
	v_add_f32_e32 v17, v32, v41
	v_add_f32_e32 v13, v31, v32
	v_fmac_f32_e32 v31, -0.5, v17
	v_mov_b32_e32 v17, v31
	v_add_f32_e32 v13, v13, v23
	v_fmac_f32_e32 v17, 0xbf737871, v24
	v_sub_f32_e32 v23, v23, v32
	v_sub_f32_e32 v30, v38, v41
	v_fmac_f32_e32 v31, 0x3f737871, v24
	v_fmac_f32_e32 v17, 0x3f167918, v22
	v_add_f32_e32 v23, v23, v30
	v_fmac_f32_e32 v31, 0xbf167918, v22
	v_fmac_f32_e32 v17, 0x3e9e377a, v23
	;; [unrolled: 1-line block ×3, first 2 shown]
	v_add_f32_e32 v23, v44, v45
	v_add_f32_e32 v13, v13, v38
	v_fma_f32 v38, -0.5, v23, v28
	v_sub_f32_e32 v23, v1, v55
	v_mov_b32_e32 v24, v38
	v_fmac_f32_e32 v24, 0xbf737871, v23
	v_sub_f32_e32 v30, v19, v53
	v_sub_f32_e32 v32, v43, v44
	;; [unrolled: 1-line block ×3, first 2 shown]
	v_fmac_f32_e32 v38, 0x3f737871, v23
	v_fmac_f32_e32 v24, 0xbf167918, v30
	v_add_f32_e32 v32, v32, v33
	v_fmac_f32_e32 v38, 0x3f167918, v30
	v_fmac_f32_e32 v24, 0x3e9e377a, v32
	;; [unrolled: 1-line block ×3, first 2 shown]
	v_add_f32_e32 v32, v43, v54
	v_add_f32_e32 v22, v28, v43
	v_fmac_f32_e32 v28, -0.5, v32
	v_mov_b32_e32 v32, v28
	v_add_f32_e32 v12, v12, v39
	v_fmac_f32_e32 v32, 0x3f737871, v30
	v_sub_f32_e32 v33, v44, v43
	v_sub_f32_e32 v39, v45, v54
	v_fmac_f32_e32 v28, 0xbf737871, v30
	v_add_f32_e32 v30, v19, v53
	v_add_f32_e32 v33, v33, v39
	v_fma_f32 v39, -0.5, v30, v29
	v_add_f32_e32 v13, v13, v41
	v_fmac_f32_e32 v32, 0xbf167918, v23
	v_fmac_f32_e32 v28, 0x3f167918, v23
	v_sub_f32_e32 v41, v43, v54
	v_mov_b32_e32 v30, v39
	v_add_f32_e32 v22, v22, v44
	v_fmac_f32_e32 v32, 0x3e9e377a, v33
	v_fmac_f32_e32 v28, 0x3e9e377a, v33
	;; [unrolled: 1-line block ×3, first 2 shown]
	v_sub_f32_e32 v43, v44, v45
	v_sub_f32_e32 v33, v1, v19
	;; [unrolled: 1-line block ×3, first 2 shown]
	v_fmac_f32_e32 v39, 0xbf737871, v41
	v_fmac_f32_e32 v30, 0x3f167918, v43
	v_add_f32_e32 v33, v33, v44
	v_fmac_f32_e32 v39, 0xbf167918, v43
	v_fmac_f32_e32 v30, 0x3e9e377a, v33
	;; [unrolled: 1-line block ×3, first 2 shown]
	v_add_f32_e32 v33, v1, v55
	v_add_f32_e32 v23, v29, v1
	v_fmac_f32_e32 v29, -0.5, v33
	v_mov_b32_e32 v33, v29
	v_add_f32_e32 v23, v23, v19
	v_fmac_f32_e32 v33, 0xbf737871, v43
	v_sub_f32_e32 v1, v19, v1
	v_sub_f32_e32 v19, v53, v55
	v_fmac_f32_e32 v29, 0x3f737871, v43
	v_fmac_f32_e32 v33, 0x3f167918, v41
	v_add_f32_e32 v1, v1, v19
	v_fmac_f32_e32 v29, 0xbf167918, v41
	v_fmac_f32_e32 v33, 0x3e9e377a, v1
	;; [unrolled: 1-line block ×3, first 2 shown]
	v_mul_lo_u32 v1, v27, v37
	v_mov_b32_e32 v43, 3
	v_add_f32_e32 v22, v22, v45
	v_mov_b32_e32 v41, 0x1000
	v_lshlrev_b32_sdwa v19, v43, v1 dst_sel:DWORD dst_unused:UNUSED_PAD src0_sel:DWORD src1_sel:BYTE_0
	global_load_dwordx2 v[44:45], v19, s[6:7]
	v_lshlrev_b32_sdwa v19, v43, v1 dst_sel:DWORD dst_unused:UNUSED_PAD src0_sel:DWORD src1_sel:BYTE_1
	global_load_dwordx2 v[46:47], v19, s[6:7] offset:2048
	v_bfe_u32 v1, v1, 16, 8
	v_lshl_or_b32 v1, v1, 3, v41
	v_add_f32_e32 v23, v23, v53
	v_add_f32_e32 v23, v23, v55
	;; [unrolled: 1-line block ×3, first 2 shown]
	s_waitcnt vmcnt(0)
	v_mul_f32_e32 v19, v45, v47
	v_mul_f32_e32 v47, v44, v47
	v_fma_f32 v19, v44, v46, -v19
	v_fmac_f32_e32 v47, v45, v46
	global_load_dwordx2 v[44:45], v1, s[6:7]
	s_waitcnt vmcnt(0)
	v_mul_f32_e32 v1, v47, v45
	v_fma_f32 v46, v44, v19, -v1
	v_mul_f32_e32 v19, v19, v45
	v_fmac_f32_e32 v19, v44, v47
	v_mul_f32_e32 v1, v7, v19
	v_fmac_f32_e32 v1, v2, v46
	v_mul_f32_e32 v2, v2, v19
	v_fma_f32 v2, v7, v46, -v2
	v_add_u32_e32 v7, 48, v37
	v_mul_lo_u32 v7, v27, v7
	v_lshlrev_b32_sdwa v19, v43, v7 dst_sel:DWORD dst_unused:UNUSED_PAD src0_sel:DWORD src1_sel:BYTE_0
	global_load_dwordx2 v[44:45], v19, s[6:7]
	v_lshlrev_b32_sdwa v19, v43, v7 dst_sel:DWORD dst_unused:UNUSED_PAD src0_sel:DWORD src1_sel:BYTE_1
	global_load_dwordx2 v[46:47], v19, s[6:7] offset:2048
	v_bfe_u32 v7, v7, 16, 8
	v_lshl_or_b32 v7, v7, 3, v41
	s_waitcnt vmcnt(0)
	v_mul_f32_e32 v19, v45, v47
	v_mul_f32_e32 v47, v44, v47
	v_fma_f32 v19, v44, v46, -v19
	v_fmac_f32_e32 v47, v45, v46
	global_load_dwordx2 v[44:45], v7, s[6:7]
	s_waitcnt vmcnt(0)
	v_mul_f32_e32 v7, v47, v45
	v_fma_f32 v46, v44, v19, -v7
	v_mul_f32_e32 v19, v19, v45
	v_fmac_f32_e32 v19, v44, v47
	v_mul_f32_e32 v7, v8, v19
	v_fmac_f32_e32 v7, v3, v46
	v_mul_f32_e32 v3, v3, v19
	v_fma_f32 v8, v8, v46, -v3
	v_add_u32_e32 v3, 0x60, v37
	v_mul_lo_u32 v3, v27, v3
	v_lshlrev_b32_sdwa v19, v43, v3 dst_sel:DWORD dst_unused:UNUSED_PAD src0_sel:DWORD src1_sel:BYTE_0
	global_load_dwordx2 v[44:45], v19, s[6:7]
	v_lshlrev_b32_sdwa v19, v43, v3 dst_sel:DWORD dst_unused:UNUSED_PAD src0_sel:DWORD src1_sel:BYTE_1
	global_load_dwordx2 v[46:47], v19, s[6:7] offset:2048
	v_bfe_u32 v3, v3, 16, 8
	v_lshl_or_b32 v3, v3, 3, v41
	;; [unrolled: 23-line block ×3, first 2 shown]
	s_waitcnt vmcnt(0)
	v_mul_f32_e32 v19, v45, v47
	v_mul_f32_e32 v47, v44, v47
	v_fma_f32 v19, v44, v46, -v19
	v_fmac_f32_e32 v47, v45, v46
	global_load_dwordx2 v[44:45], v5, s[6:7]
	s_waitcnt vmcnt(0)
	v_mul_f32_e32 v5, v47, v45
	v_fma_f32 v46, v44, v19, -v5
	v_mul_f32_e32 v19, v19, v45
	v_fmac_f32_e32 v19, v44, v47
	v_mul_f32_e32 v5, v6, v19
	v_fmac_f32_e32 v5, v9, v46
	v_mul_f32_e32 v9, v9, v19
	v_fma_f32 v6, v6, v46, -v9
	v_or_b32_e32 v9, 0xc0, v37
	v_mul_lo_u32 v9, v27, v9
	v_lshlrev_b32_sdwa v19, v43, v9 dst_sel:DWORD dst_unused:UNUSED_PAD src0_sel:DWORD src1_sel:BYTE_0
	global_load_dwordx2 v[44:45], v19, s[6:7]
	v_lshlrev_b32_sdwa v19, v43, v9 dst_sel:DWORD dst_unused:UNUSED_PAD src0_sel:DWORD src1_sel:BYTE_1
	global_load_dwordx2 v[46:47], v19, s[6:7] offset:2048
	v_bfe_u32 v9, v9, 16, 8
	v_lshl_or_b32 v9, v9, 3, v41
	s_waitcnt vmcnt(0)
	v_mul_f32_e32 v19, v45, v47
	v_mul_f32_e32 v47, v44, v47
	v_fma_f32 v19, v44, v46, -v19
	v_fmac_f32_e32 v47, v45, v46
	global_load_dwordx2 v[44:45], v9, s[6:7]
	s_waitcnt vmcnt(0)
	v_mul_f32_e32 v9, v47, v45
	v_fma_f32 v46, v44, v19, -v9
	v_mul_f32_e32 v19, v19, v45
	v_fmac_f32_e32 v19, v44, v47
	v_mul_f32_e32 v9, v11, v19
	v_fmac_f32_e32 v9, v10, v46
	v_mul_f32_e32 v10, v10, v19
	v_fma_f32 v10, v11, v46, -v10
	v_mul_lo_u32 v11, v27, v21
	v_lshlrev_b32_sdwa v19, v43, v11 dst_sel:DWORD dst_unused:UNUSED_PAD src0_sel:DWORD src1_sel:BYTE_0
	global_load_dwordx2 v[44:45], v19, s[6:7]
	v_lshlrev_b32_sdwa v19, v43, v11 dst_sel:DWORD dst_unused:UNUSED_PAD src0_sel:DWORD src1_sel:BYTE_1
	global_load_dwordx2 v[46:47], v19, s[6:7] offset:2048
	v_bfe_u32 v11, v11, 16, 8
	v_lshl_or_b32 v11, v11, 3, v41
	s_waitcnt vmcnt(0)
	v_mul_f32_e32 v19, v45, v47
	v_mul_f32_e32 v47, v44, v47
	v_fma_f32 v19, v44, v46, -v19
	v_fmac_f32_e32 v47, v45, v46
	global_load_dwordx2 v[44:45], v11, s[6:7]
	s_waitcnt vmcnt(0)
	v_mul_f32_e32 v11, v47, v45
	v_fma_f32 v46, v44, v19, -v11
	v_mul_f32_e32 v19, v19, v45
	v_fmac_f32_e32 v19, v44, v47
	v_mul_f32_e32 v11, v13, v19
	v_fmac_f32_e32 v11, v12, v46
	v_mul_f32_e32 v12, v12, v19
	v_fma_f32 v12, v13, v46, -v12
	v_add_u32_e32 v13, 48, v21
	v_mul_lo_u32 v13, v27, v13
	v_lshlrev_b32_sdwa v19, v43, v13 dst_sel:DWORD dst_unused:UNUSED_PAD src0_sel:DWORD src1_sel:BYTE_0
	global_load_dwordx2 v[44:45], v19, s[6:7]
	v_lshlrev_b32_sdwa v19, v43, v13 dst_sel:DWORD dst_unused:UNUSED_PAD src0_sel:DWORD src1_sel:BYTE_1
	global_load_dwordx2 v[46:47], v19, s[6:7] offset:2048
	v_bfe_u32 v13, v13, 16, 8
	v_lshl_or_b32 v13, v13, 3, v41
	s_waitcnt vmcnt(0)
	v_mul_f32_e32 v19, v45, v47
	v_mul_f32_e32 v47, v44, v47
	v_fma_f32 v19, v44, v46, -v19
	v_fmac_f32_e32 v47, v45, v46
	global_load_dwordx2 v[44:45], v13, s[6:7]
	s_waitcnt vmcnt(0)
	v_mul_f32_e32 v13, v47, v45
	v_fma_f32 v46, v44, v19, -v13
	v_mul_f32_e32 v19, v19, v45
	v_fmac_f32_e32 v19, v44, v47
	v_mul_f32_e32 v13, v15, v19
	v_fmac_f32_e32 v13, v14, v46
	v_mul_f32_e32 v14, v14, v19
	v_fma_f32 v14, v15, v46, -v14
	v_add_u32_e32 v15, 0x60, v21
	v_mul_lo_u32 v15, v27, v15
	v_lshlrev_b32_sdwa v19, v43, v15 dst_sel:DWORD dst_unused:UNUSED_PAD src0_sel:DWORD src1_sel:BYTE_0
	global_load_dwordx2 v[44:45], v19, s[6:7]
	v_lshlrev_b32_sdwa v19, v43, v15 dst_sel:DWORD dst_unused:UNUSED_PAD src0_sel:DWORD src1_sel:BYTE_1
	global_load_dwordx2 v[46:47], v19, s[6:7] offset:2048
	v_bfe_u32 v15, v15, 16, 8
	v_lshl_or_b32 v15, v15, 3, v41
	s_waitcnt vmcnt(0)
	v_mul_f32_e32 v19, v45, v47
	v_mul_f32_e32 v47, v44, v47
	v_fma_f32 v19, v44, v46, -v19
	v_fmac_f32_e32 v47, v45, v46
	global_load_dwordx2 v[44:45], v15, s[6:7]
	s_waitcnt vmcnt(0)
	v_mul_f32_e32 v15, v47, v45
	v_fma_f32 v46, v44, v19, -v15
	v_mul_f32_e32 v19, v19, v45
	v_fmac_f32_e32 v19, v44, v47
	v_mul_f32_e32 v15, v17, v19
	v_fmac_f32_e32 v15, v16, v46
	v_mul_f32_e32 v16, v16, v19
	v_fma_f32 v16, v17, v46, -v16
	v_add_u32_e32 v17, 0x90, v21
	v_mul_lo_u32 v17, v27, v17
	v_lshlrev_b32_sdwa v19, v43, v17 dst_sel:DWORD dst_unused:UNUSED_PAD src0_sel:DWORD src1_sel:BYTE_0
	global_load_dwordx2 v[44:45], v19, s[6:7]
	v_lshlrev_b32_sdwa v19, v43, v17 dst_sel:DWORD dst_unused:UNUSED_PAD src0_sel:DWORD src1_sel:BYTE_1
	global_load_dwordx2 v[46:47], v19, s[6:7] offset:2048
	v_bfe_u32 v17, v17, 16, 8
	v_lshl_or_b32 v17, v17, 3, v41
	s_waitcnt vmcnt(0)
	v_mul_f32_e32 v19, v45, v47
	v_mul_f32_e32 v47, v44, v47
	v_fma_f32 v19, v44, v46, -v19
	v_fmac_f32_e32 v47, v45, v46
	global_load_dwordx2 v[44:45], v17, s[6:7]
	s_waitcnt vmcnt(0)
	v_mul_f32_e32 v17, v47, v45
	v_fma_f32 v46, v44, v19, -v17
	v_mul_f32_e32 v19, v19, v45
	v_fmac_f32_e32 v19, v44, v47
	v_mul_f32_e32 v17, v31, v19
	v_fmac_f32_e32 v17, v18, v46
	v_mul_f32_e32 v18, v18, v19
	v_or_b32_e32 v19, 0xc0, v21
	v_mul_lo_u32 v19, v27, v19
	v_fma_f32 v18, v31, v46, -v18
	v_lshlrev_b32_sdwa v21, v43, v19 dst_sel:DWORD dst_unused:UNUSED_PAD src0_sel:DWORD src1_sel:BYTE_0
	global_load_dwordx2 v[44:45], v21, s[6:7]
	v_lshlrev_b32_sdwa v21, v43, v19 dst_sel:DWORD dst_unused:UNUSED_PAD src0_sel:DWORD src1_sel:BYTE_1
	global_load_dwordx2 v[46:47], v21, s[6:7] offset:2048
	v_bfe_u32 v19, v19, 16, 8
	v_lshl_or_b32 v19, v19, 3, v41
	s_waitcnt vmcnt(0)
	v_mul_f32_e32 v21, v45, v47
	v_mul_f32_e32 v31, v44, v47
	v_fma_f32 v21, v44, v46, -v21
	v_fmac_f32_e32 v31, v45, v46
	global_load_dwordx2 v[44:45], v19, s[6:7]
	s_waitcnt vmcnt(0)
	v_mul_f32_e32 v19, v31, v45
	v_fma_f32 v46, v44, v21, -v19
	v_mul_f32_e32 v21, v21, v45
	v_fmac_f32_e32 v21, v44, v31
	v_mul_f32_e32 v19, v42, v21
	v_fmac_f32_e32 v19, v20, v46
	v_mul_f32_e32 v20, v20, v21
	v_mul_lo_u32 v21, v27, v40
	v_fma_f32 v20, v42, v46, -v20
	v_lshlrev_b32_sdwa v31, v43, v21 dst_sel:DWORD dst_unused:UNUSED_PAD src0_sel:DWORD src1_sel:BYTE_0
	global_load_dwordx2 v[44:45], v31, s[6:7]
	v_lshlrev_b32_sdwa v31, v43, v21 dst_sel:DWORD dst_unused:UNUSED_PAD src0_sel:DWORD src1_sel:BYTE_1
	global_load_dwordx2 v[46:47], v31, s[6:7] offset:2048
	v_bfe_u32 v21, v21, 16, 8
	v_lshl_or_b32 v21, v21, 3, v41
	s_waitcnt vmcnt(0)
	v_mul_f32_e32 v31, v45, v47
	v_mul_f32_e32 v42, v44, v47
	v_fma_f32 v31, v44, v46, -v31
	v_fmac_f32_e32 v42, v45, v46
	global_load_dwordx2 v[44:45], v21, s[6:7]
	s_waitcnt vmcnt(0)
	v_mul_f32_e32 v21, v42, v45
	v_fma_f32 v46, v44, v31, -v21
	v_mul_f32_e32 v31, v31, v45
	v_fmac_f32_e32 v31, v44, v42
	v_mul_f32_e32 v21, v23, v31
	v_fmac_f32_e32 v21, v22, v46
	v_mul_f32_e32 v22, v22, v31
	v_fma_f32 v22, v23, v46, -v22
	v_add_u32_e32 v23, 48, v40
	v_mul_lo_u32 v23, v27, v23
	v_lshlrev_b32_sdwa v31, v43, v23 dst_sel:DWORD dst_unused:UNUSED_PAD src0_sel:DWORD src1_sel:BYTE_0
	global_load_dwordx2 v[44:45], v31, s[6:7]
	v_lshlrev_b32_sdwa v31, v43, v23 dst_sel:DWORD dst_unused:UNUSED_PAD src0_sel:DWORD src1_sel:BYTE_1
	global_load_dwordx2 v[46:47], v31, s[6:7] offset:2048
	v_bfe_u32 v23, v23, 16, 8
	v_lshl_or_b32 v23, v23, 3, v41
	s_waitcnt vmcnt(0)
	v_mul_f32_e32 v31, v45, v47
	v_mul_f32_e32 v42, v44, v47
	v_fma_f32 v31, v44, v46, -v31
	v_fmac_f32_e32 v42, v45, v46
	global_load_dwordx2 v[44:45], v23, s[6:7]
	s_waitcnt vmcnt(0)
	v_mul_f32_e32 v23, v42, v45
	v_fma_f32 v46, v44, v31, -v23
	v_mul_f32_e32 v31, v31, v45
	v_fmac_f32_e32 v31, v44, v42
	v_mul_f32_e32 v23, v30, v31
	v_fmac_f32_e32 v23, v24, v46
	v_mul_f32_e32 v24, v24, v31
	v_fma_f32 v24, v30, v46, -v24
	v_add_u32_e32 v30, 0x60, v40
	v_mul_lo_u32 v42, v27, v30
	v_lshlrev_b32_sdwa v30, v43, v42 dst_sel:DWORD dst_unused:UNUSED_PAD src0_sel:DWORD src1_sel:BYTE_0
	v_lshlrev_b32_sdwa v44, v43, v42 dst_sel:DWORD dst_unused:UNUSED_PAD src0_sel:DWORD src1_sel:BYTE_1
	global_load_dwordx2 v[30:31], v30, s[6:7]
	s_nop 0
	global_load_dwordx2 v[44:45], v44, s[6:7] offset:2048
	s_waitcnt vmcnt(0)
	v_mul_f32_e32 v46, v31, v45
	v_fma_f32 v46, v30, v44, -v46
	v_mul_f32_e32 v45, v30, v45
	v_bfe_u32 v30, v42, 16, 8
	v_lshl_or_b32 v30, v30, 3, v41
	v_fmac_f32_e32 v45, v31, v44
	global_load_dwordx2 v[30:31], v30, s[6:7]
	s_waitcnt vmcnt(0)
	v_mul_f32_e32 v42, v45, v31
	v_mul_f32_e32 v31, v46, v31
	v_fmac_f32_e32 v31, v30, v45
	v_fma_f32 v42, v30, v46, -v42
	v_mul_f32_e32 v30, v33, v31
	v_fmac_f32_e32 v30, v32, v42
	v_mul_f32_e32 v31, v32, v31
	v_add_u32_e32 v32, 0x90, v40
	v_fma_f32 v31, v33, v42, -v31
	v_mul_lo_u32 v42, v27, v32
	v_lshlrev_b32_sdwa v32, v43, v42 dst_sel:DWORD dst_unused:UNUSED_PAD src0_sel:DWORD src1_sel:BYTE_0
	v_lshlrev_b32_sdwa v44, v43, v42 dst_sel:DWORD dst_unused:UNUSED_PAD src0_sel:DWORD src1_sel:BYTE_1
	global_load_dwordx2 v[32:33], v32, s[6:7]
	s_nop 0
	global_load_dwordx2 v[44:45], v44, s[6:7] offset:2048
	s_waitcnt vmcnt(0)
	v_mul_f32_e32 v46, v33, v45
	v_fma_f32 v46, v32, v44, -v46
	v_mul_f32_e32 v45, v32, v45
	v_bfe_u32 v32, v42, 16, 8
	v_lshl_or_b32 v32, v32, 3, v41
	v_fmac_f32_e32 v45, v33, v44
	global_load_dwordx2 v[32:33], v32, s[6:7]
	s_waitcnt vmcnt(0)
	v_mul_f32_e32 v42, v45, v33
	v_mul_f32_e32 v33, v46, v33
	v_fmac_f32_e32 v33, v32, v45
	v_fma_f32 v42, v32, v46, -v42
	v_mul_f32_e32 v32, v29, v33
	v_fmac_f32_e32 v32, v28, v42
	v_mul_f32_e32 v28, v28, v33
	v_fma_f32 v33, v29, v42, -v28
	v_or_b32_e32 v28, 0xc0, v40
	v_mul_lo_u32 v29, v27, v28
	v_lshlrev_b32_sdwa v27, v43, v29 dst_sel:DWORD dst_unused:UNUSED_PAD src0_sel:DWORD src1_sel:BYTE_0
	v_lshlrev_b32_sdwa v40, v43, v29 dst_sel:DWORD dst_unused:UNUSED_PAD src0_sel:DWORD src1_sel:BYTE_1
	global_load_dwordx2 v[27:28], v27, s[6:7]
	s_nop 0
	global_load_dwordx2 v[42:43], v40, s[6:7] offset:2048
	s_waitcnt vmcnt(0)
	v_mul_f32_e32 v40, v28, v43
	v_fma_f32 v40, v27, v42, -v40
	v_mul_f32_e32 v43, v27, v43
	v_bfe_u32 v27, v29, 16, 8
	v_lshl_or_b32 v27, v27, 3, v41
	v_fmac_f32_e32 v43, v28, v42
	global_load_dwordx2 v[27:28], v27, s[6:7]
	s_waitcnt vmcnt(0)
	v_mul_f32_e32 v29, v43, v28
	v_mul_f32_e32 v28, v40, v28
	v_fmac_f32_e32 v28, v27, v43
	v_fma_f32 v29, v27, v40, -v29
	v_mul_f32_e32 v27, v39, v28
	v_mul_f32_e32 v28, v38, v28
	v_fmac_f32_e32 v27, v38, v29
	v_fma_f32 v28, v39, v29, -v28
	v_mov_b32_e32 v29, 0xf0
	v_cndmask_b32_e64 v29, 0, v29, s[4:5]
	v_add_u32_e32 v29, v37, v29
	v_mul_lo_u32 v37, s12, v29
	s_movk_i32 s4, 0x5f
	v_cmp_lt_u32_e64 s[4:5], s4, v0
	s_or_b64 s[0:1], s[4:5], s[0:1]
	v_add_lshl_u32 v37, v25, v37, 3
	v_cndmask_b32_e64 v37, -1, v37, s[2:3]
	buffer_store_dwordx2 v[1:2], v37, s[8:11], s13 offen
	v_add_u32_e32 v1, 48, v29
	v_mul_lo_u32 v1, s12, v1
	v_add_lshl_u32 v1, v25, v1, 3
	v_cndmask_b32_e64 v1, -1, v1, s[2:3]
	buffer_store_dwordx2 v[7:8], v1, s[8:11], s13 offen
	v_add_u32_e32 v1, 0x60, v29
	v_mul_lo_u32 v1, s12, v1
	;; [unrolled: 5-line block ×3, first 2 shown]
	v_cndmask_b32_e64 v3, 0, 1, vcc
	v_add_lshl_u32 v1, v25, v1, 3
	v_cndmask_b32_e64 v1, -1, v1, s[2:3]
	buffer_store_dwordx2 v[5:6], v1, s[8:11], s13 offen
	v_add_u32_e32 v1, 0xc0, v29
	v_mul_lo_u32 v1, s12, v1
	v_add_lshl_u32 v1, v25, v1, 3
	v_cndmask_b32_e64 v1, -1, v1, s[2:3]
	buffer_store_dwordx2 v[9:10], v1, s[8:11], s13 offen
	v_mul_u32_u24_e32 v1, 0xc0, v34
	v_or_b32_e32 v1, v1, v26
	v_mul_lo_u32 v2, s12, v1
	v_add_lshl_u32 v2, v25, v2, 3
	v_cndmask_b32_e64 v2, -1, v2, s[2:3]
	buffer_store_dwordx2 v[11:12], v2, s[8:11], s13 offen
	v_add_u32_e32 v2, 48, v1
	v_mul_lo_u32 v2, s12, v2
	v_add_lshl_u32 v2, v25, v2, 3
	v_cndmask_b32_e64 v2, -1, v2, s[2:3]
	buffer_store_dwordx2 v[13:14], v2, s[8:11], s13 offen
	v_add_u32_e32 v2, 0x60, v1
	;; [unrolled: 5-line block ×3, first 2 shown]
	v_add_u32_e32 v1, 0xc0, v1
	v_mul_lo_u32 v2, s12, v2
	v_mul_lo_u32 v1, s12, v1
	v_add_lshl_u32 v2, v25, v2, 3
	v_add_lshl_u32 v1, v25, v1, 3
	v_cndmask_b32_e64 v2, -1, v2, s[2:3]
	v_cndmask_b32_e64 v1, -1, v1, s[2:3]
	buffer_store_dwordx2 v[17:18], v2, s[8:11], s13 offen
	buffer_store_dwordx2 v[19:20], v1, s[8:11], s13 offen
	v_mad_u32_u24 v1, v35, s14, v36
	v_mul_lo_u32 v2, s12, v1
	v_cmp_gt_u32_e64 s[2:3], s18, v0
	v_cndmask_b32_e64 v0, 0, 1, s[2:3]
	v_cndmask_b32_e64 v0, v3, v0, s[0:1]
	v_and_b32_e32 v0, 1, v0
	v_cmp_eq_u32_e32 vcc, 1, v0
	v_add_lshl_u32 v0, v25, v2, 3
	v_cndmask_b32_e32 v0, -1, v0, vcc
	buffer_store_dwordx2 v[21:22], v0, s[8:11], s13 offen
	v_add_u32_e32 v0, 48, v1
	v_mul_lo_u32 v0, s12, v0
	v_add_lshl_u32 v0, v25, v0, 3
	v_cndmask_b32_e32 v0, -1, v0, vcc
	buffer_store_dwordx2 v[23:24], v0, s[8:11], s13 offen
	v_add_u32_e32 v0, 0x60, v1
	v_mul_lo_u32 v0, s12, v0
	v_add_lshl_u32 v0, v25, v0, 3
	v_cndmask_b32_e32 v0, -1, v0, vcc
	buffer_store_dwordx2 v[30:31], v0, s[8:11], s13 offen
	v_add_u32_e32 v0, 0x90, v1
	v_mul_lo_u32 v0, s12, v0
	v_add_lshl_u32 v0, v25, v0, 3
	v_cndmask_b32_e32 v0, -1, v0, vcc
	buffer_store_dwordx2 v[32:33], v0, s[8:11], s13 offen
	v_add_u32_e32 v0, 0xc0, v1
	v_mul_lo_u32 v0, s12, v0
	v_add_lshl_u32 v0, v25, v0, 3
	v_cndmask_b32_e32 v0, -1, v0, vcc
	buffer_store_dwordx2 v[27:28], v0, s[8:11], s13 offen
	s_endpgm
	.section	.rodata,"a",@progbits
	.p2align	6, 0x0
	.amdhsa_kernel fft_rtc_back_len240_factors_4_4_3_5_wgs_240_tpt_20_dim3_sp_ip_CI_sbcc_twdbase8_3step_dirReg_intrinsicReadWrite
		.amdhsa_group_segment_fixed_size 0
		.amdhsa_private_segment_fixed_size 0
		.amdhsa_kernarg_size 88
		.amdhsa_user_sgpr_count 6
		.amdhsa_user_sgpr_private_segment_buffer 1
		.amdhsa_user_sgpr_dispatch_ptr 0
		.amdhsa_user_sgpr_queue_ptr 0
		.amdhsa_user_sgpr_kernarg_segment_ptr 1
		.amdhsa_user_sgpr_dispatch_id 0
		.amdhsa_user_sgpr_flat_scratch_init 0
		.amdhsa_user_sgpr_private_segment_size 0
		.amdhsa_uses_dynamic_stack 0
		.amdhsa_system_sgpr_private_segment_wavefront_offset 0
		.amdhsa_system_sgpr_workgroup_id_x 1
		.amdhsa_system_sgpr_workgroup_id_y 0
		.amdhsa_system_sgpr_workgroup_id_z 0
		.amdhsa_system_sgpr_workgroup_info 0
		.amdhsa_system_vgpr_workitem_id 0
		.amdhsa_next_free_vgpr 56
		.amdhsa_next_free_sgpr 28
		.amdhsa_reserve_vcc 1
		.amdhsa_reserve_flat_scratch 0
		.amdhsa_float_round_mode_32 0
		.amdhsa_float_round_mode_16_64 0
		.amdhsa_float_denorm_mode_32 3
		.amdhsa_float_denorm_mode_16_64 3
		.amdhsa_dx10_clamp 1
		.amdhsa_ieee_mode 1
		.amdhsa_fp16_overflow 0
		.amdhsa_exception_fp_ieee_invalid_op 0
		.amdhsa_exception_fp_denorm_src 0
		.amdhsa_exception_fp_ieee_div_zero 0
		.amdhsa_exception_fp_ieee_overflow 0
		.amdhsa_exception_fp_ieee_underflow 0
		.amdhsa_exception_fp_ieee_inexact 0
		.amdhsa_exception_int_div_zero 0
	.end_amdhsa_kernel
	.text
.Lfunc_end0:
	.size	fft_rtc_back_len240_factors_4_4_3_5_wgs_240_tpt_20_dim3_sp_ip_CI_sbcc_twdbase8_3step_dirReg_intrinsicReadWrite, .Lfunc_end0-fft_rtc_back_len240_factors_4_4_3_5_wgs_240_tpt_20_dim3_sp_ip_CI_sbcc_twdbase8_3step_dirReg_intrinsicReadWrite
                                        ; -- End function
	.section	.AMDGPU.csdata,"",@progbits
; Kernel info:
; codeLenInByte = 7780
; NumSgprs: 32
; NumVgprs: 56
; ScratchSize: 0
; MemoryBound: 0
; FloatMode: 240
; IeeeMode: 1
; LDSByteSize: 0 bytes/workgroup (compile time only)
; SGPRBlocks: 3
; VGPRBlocks: 13
; NumSGPRsForWavesPerEU: 32
; NumVGPRsForWavesPerEU: 56
; Occupancy: 4
; WaveLimiterHint : 0
; COMPUTE_PGM_RSRC2:SCRATCH_EN: 0
; COMPUTE_PGM_RSRC2:USER_SGPR: 6
; COMPUTE_PGM_RSRC2:TRAP_HANDLER: 0
; COMPUTE_PGM_RSRC2:TGID_X_EN: 1
; COMPUTE_PGM_RSRC2:TGID_Y_EN: 0
; COMPUTE_PGM_RSRC2:TGID_Z_EN: 0
; COMPUTE_PGM_RSRC2:TIDIG_COMP_CNT: 0
	.type	__hip_cuid_9a84ffb402fc96ac,@object ; @__hip_cuid_9a84ffb402fc96ac
	.section	.bss,"aw",@nobits
	.globl	__hip_cuid_9a84ffb402fc96ac
__hip_cuid_9a84ffb402fc96ac:
	.byte	0                               ; 0x0
	.size	__hip_cuid_9a84ffb402fc96ac, 1

	.ident	"AMD clang version 19.0.0git (https://github.com/RadeonOpenCompute/llvm-project roc-6.4.0 25133 c7fe45cf4b819c5991fe208aaa96edf142730f1d)"
	.section	".note.GNU-stack","",@progbits
	.addrsig
	.addrsig_sym __hip_cuid_9a84ffb402fc96ac
	.amdgpu_metadata
---
amdhsa.kernels:
  - .args:
      - .actual_access:  read_only
        .address_space:  global
        .offset:         0
        .size:           8
        .value_kind:     global_buffer
      - .address_space:  global
        .offset:         8
        .size:           8
        .value_kind:     global_buffer
      - .actual_access:  read_only
        .address_space:  global
        .offset:         16
        .size:           8
        .value_kind:     global_buffer
      - .actual_access:  read_only
        .address_space:  global
        .offset:         24
        .size:           8
        .value_kind:     global_buffer
      - .offset:         32
        .size:           8
        .value_kind:     by_value
      - .actual_access:  read_only
        .address_space:  global
        .offset:         40
        .size:           8
        .value_kind:     global_buffer
      - .actual_access:  read_only
        .address_space:  global
        .offset:         48
        .size:           8
        .value_kind:     global_buffer
      - .offset:         56
        .size:           4
        .value_kind:     by_value
      - .actual_access:  read_only
        .address_space:  global
        .offset:         64
        .size:           8
        .value_kind:     global_buffer
      - .actual_access:  read_only
        .address_space:  global
        .offset:         72
        .size:           8
        .value_kind:     global_buffer
      - .address_space:  global
        .offset:         80
        .size:           8
        .value_kind:     global_buffer
    .group_segment_fixed_size: 0
    .kernarg_segment_align: 8
    .kernarg_segment_size: 88
    .language:       OpenCL C
    .language_version:
      - 2
      - 0
    .max_flat_workgroup_size: 240
    .name:           fft_rtc_back_len240_factors_4_4_3_5_wgs_240_tpt_20_dim3_sp_ip_CI_sbcc_twdbase8_3step_dirReg_intrinsicReadWrite
    .private_segment_fixed_size: 0
    .sgpr_count:     32
    .sgpr_spill_count: 0
    .symbol:         fft_rtc_back_len240_factors_4_4_3_5_wgs_240_tpt_20_dim3_sp_ip_CI_sbcc_twdbase8_3step_dirReg_intrinsicReadWrite.kd
    .uniform_work_group_size: 1
    .uses_dynamic_stack: false
    .vgpr_count:     56
    .vgpr_spill_count: 0
    .wavefront_size: 64
amdhsa.target:   amdgcn-amd-amdhsa--gfx906
amdhsa.version:
  - 1
  - 2
...

	.end_amdgpu_metadata
